;; amdgpu-corpus repo=ROCm/rocFFT kind=compiled arch=gfx1030 opt=O3
	.text
	.amdgcn_target "amdgcn-amd-amdhsa--gfx1030"
	.amdhsa_code_object_version 6
	.protected	fft_rtc_back_len49_factors_7_7_wgs_63_tpt_7_halfLds_sp_ip_CI_unitstride_sbrr_dirReg ; -- Begin function fft_rtc_back_len49_factors_7_7_wgs_63_tpt_7_halfLds_sp_ip_CI_unitstride_sbrr_dirReg
	.globl	fft_rtc_back_len49_factors_7_7_wgs_63_tpt_7_halfLds_sp_ip_CI_unitstride_sbrr_dirReg
	.p2align	8
	.type	fft_rtc_back_len49_factors_7_7_wgs_63_tpt_7_halfLds_sp_ip_CI_unitstride_sbrr_dirReg,@function
fft_rtc_back_len49_factors_7_7_wgs_63_tpt_7_halfLds_sp_ip_CI_unitstride_sbrr_dirReg: ; @fft_rtc_back_len49_factors_7_7_wgs_63_tpt_7_halfLds_sp_ip_CI_unitstride_sbrr_dirReg
; %bb.0:
	s_load_dwordx4 s[8:11], s[4:5], 0x0
	v_mul_u32_u24_e32 v1, 0x2493, v0
	s_clause 0x1
	s_load_dwordx2 s[2:3], s[4:5], 0x50
	s_load_dwordx2 s[12:13], s[4:5], 0x18
	v_mov_b32_e32 v5, 0
	v_mov_b32_e32 v3, 0
	;; [unrolled: 1-line block ×3, first 2 shown]
	v_lshrrev_b32_e32 v1, 16, v1
	v_mad_u64_u32 v[1:2], null, s6, 9, v[1:2]
	v_mov_b32_e32 v2, v5
	v_mov_b32_e32 v10, v2
	;; [unrolled: 1-line block ×3, first 2 shown]
	s_waitcnt lgkmcnt(0)
	v_cmp_lt_u64_e64 s0, s[10:11], 2
	s_and_b32 vcc_lo, exec_lo, s0
	s_cbranch_vccnz .LBB0_8
; %bb.1:
	s_load_dwordx2 s[0:1], s[4:5], 0x10
	v_mov_b32_e32 v3, 0
	v_mov_b32_e32 v8, v2
	s_add_u32 s6, s12, 8
	v_mov_b32_e32 v4, 0
	v_mov_b32_e32 v7, v1
	s_addc_u32 s7, s13, 0
	s_mov_b64 s[16:17], 1
	s_waitcnt lgkmcnt(0)
	s_add_u32 s14, s0, 8
	s_addc_u32 s15, s1, 0
.LBB0_2:                                ; =>This Inner Loop Header: Depth=1
	s_load_dwordx2 s[18:19], s[14:15], 0x0
                                        ; implicit-def: $vgpr9_vgpr10
	s_mov_b32 s0, exec_lo
	s_waitcnt lgkmcnt(0)
	v_or_b32_e32 v6, s19, v8
	v_cmpx_ne_u64_e32 0, v[5:6]
	s_xor_b32 s1, exec_lo, s0
	s_cbranch_execz .LBB0_4
; %bb.3:                                ;   in Loop: Header=BB0_2 Depth=1
	v_cvt_f32_u32_e32 v2, s18
	v_cvt_f32_u32_e32 v6, s19
	s_sub_u32 s0, 0, s18
	s_subb_u32 s20, 0, s19
	v_fmac_f32_e32 v2, 0x4f800000, v6
	v_rcp_f32_e32 v2, v2
	v_mul_f32_e32 v2, 0x5f7ffffc, v2
	v_mul_f32_e32 v6, 0x2f800000, v2
	v_trunc_f32_e32 v6, v6
	v_fmac_f32_e32 v2, 0xcf800000, v6
	v_cvt_u32_f32_e32 v6, v6
	v_cvt_u32_f32_e32 v2, v2
	v_mul_lo_u32 v9, s0, v6
	v_mul_hi_u32 v10, s0, v2
	v_mul_lo_u32 v11, s20, v2
	v_add_nc_u32_e32 v9, v10, v9
	v_mul_lo_u32 v10, s0, v2
	v_add_nc_u32_e32 v9, v9, v11
	v_mul_hi_u32 v11, v2, v10
	v_mul_lo_u32 v12, v2, v9
	v_mul_hi_u32 v13, v2, v9
	v_mul_hi_u32 v14, v6, v10
	v_mul_lo_u32 v10, v6, v10
	v_mul_hi_u32 v15, v6, v9
	v_mul_lo_u32 v9, v6, v9
	v_add_co_u32 v11, vcc_lo, v11, v12
	v_add_co_ci_u32_e32 v12, vcc_lo, 0, v13, vcc_lo
	v_add_co_u32 v10, vcc_lo, v11, v10
	v_add_co_ci_u32_e32 v10, vcc_lo, v12, v14, vcc_lo
	v_add_co_ci_u32_e32 v11, vcc_lo, 0, v15, vcc_lo
	v_add_co_u32 v9, vcc_lo, v10, v9
	v_add_co_ci_u32_e32 v10, vcc_lo, 0, v11, vcc_lo
	v_add_co_u32 v2, vcc_lo, v2, v9
	v_add_co_ci_u32_e32 v6, vcc_lo, v6, v10, vcc_lo
	v_mul_hi_u32 v9, s0, v2
	v_mul_lo_u32 v11, s20, v2
	v_mul_lo_u32 v10, s0, v6
	v_add_nc_u32_e32 v9, v9, v10
	v_mul_lo_u32 v10, s0, v2
	v_add_nc_u32_e32 v9, v9, v11
	v_mul_hi_u32 v11, v2, v10
	v_mul_lo_u32 v12, v2, v9
	v_mul_hi_u32 v13, v2, v9
	v_mul_hi_u32 v14, v6, v10
	v_mul_lo_u32 v10, v6, v10
	v_mul_hi_u32 v15, v6, v9
	v_mul_lo_u32 v9, v6, v9
	v_add_co_u32 v11, vcc_lo, v11, v12
	v_add_co_ci_u32_e32 v12, vcc_lo, 0, v13, vcc_lo
	v_add_co_u32 v10, vcc_lo, v11, v10
	v_add_co_ci_u32_e32 v10, vcc_lo, v12, v14, vcc_lo
	v_add_co_ci_u32_e32 v11, vcc_lo, 0, v15, vcc_lo
	v_add_co_u32 v9, vcc_lo, v10, v9
	v_add_co_ci_u32_e32 v10, vcc_lo, 0, v11, vcc_lo
	v_add_co_u32 v2, vcc_lo, v2, v9
	v_add_co_ci_u32_e32 v6, vcc_lo, v6, v10, vcc_lo
	v_mul_hi_u32 v15, v7, v2
	v_mad_u64_u32 v[11:12], null, v8, v2, 0
	v_mad_u64_u32 v[9:10], null, v7, v6, 0
	v_mad_u64_u32 v[13:14], null, v8, v6, 0
	v_add_co_u32 v2, vcc_lo, v15, v9
	v_add_co_ci_u32_e32 v6, vcc_lo, 0, v10, vcc_lo
	v_add_co_u32 v2, vcc_lo, v2, v11
	v_add_co_ci_u32_e32 v2, vcc_lo, v6, v12, vcc_lo
	v_add_co_ci_u32_e32 v6, vcc_lo, 0, v14, vcc_lo
	v_add_co_u32 v2, vcc_lo, v2, v13
	v_add_co_ci_u32_e32 v6, vcc_lo, 0, v6, vcc_lo
	v_mul_lo_u32 v11, s19, v2
	v_mad_u64_u32 v[9:10], null, s18, v2, 0
	v_mul_lo_u32 v12, s18, v6
	v_sub_co_u32 v9, vcc_lo, v7, v9
	v_add3_u32 v10, v10, v12, v11
	v_sub_nc_u32_e32 v11, v8, v10
	v_subrev_co_ci_u32_e64 v11, s0, s19, v11, vcc_lo
	v_add_co_u32 v12, s0, v2, 2
	v_add_co_ci_u32_e64 v13, s0, 0, v6, s0
	v_sub_co_u32 v14, s0, v9, s18
	v_sub_co_ci_u32_e32 v10, vcc_lo, v8, v10, vcc_lo
	v_subrev_co_ci_u32_e64 v11, s0, 0, v11, s0
	v_cmp_le_u32_e32 vcc_lo, s18, v14
	v_cmp_eq_u32_e64 s0, s19, v10
	v_cndmask_b32_e64 v14, 0, -1, vcc_lo
	v_cmp_le_u32_e32 vcc_lo, s19, v11
	v_cndmask_b32_e64 v15, 0, -1, vcc_lo
	v_cmp_le_u32_e32 vcc_lo, s18, v9
	;; [unrolled: 2-line block ×3, first 2 shown]
	v_cndmask_b32_e64 v16, 0, -1, vcc_lo
	v_cmp_eq_u32_e32 vcc_lo, s19, v11
	v_cndmask_b32_e64 v9, v16, v9, s0
	v_cndmask_b32_e32 v11, v15, v14, vcc_lo
	v_add_co_u32 v14, vcc_lo, v2, 1
	v_add_co_ci_u32_e32 v15, vcc_lo, 0, v6, vcc_lo
	v_cmp_ne_u32_e32 vcc_lo, 0, v11
	v_cndmask_b32_e32 v10, v15, v13, vcc_lo
	v_cndmask_b32_e32 v11, v14, v12, vcc_lo
	v_cmp_ne_u32_e32 vcc_lo, 0, v9
	v_cndmask_b32_e32 v10, v6, v10, vcc_lo
	v_cndmask_b32_e32 v9, v2, v11, vcc_lo
.LBB0_4:                                ;   in Loop: Header=BB0_2 Depth=1
	s_andn2_saveexec_b32 s0, s1
	s_cbranch_execz .LBB0_6
; %bb.5:                                ;   in Loop: Header=BB0_2 Depth=1
	v_cvt_f32_u32_e32 v2, s18
	s_sub_i32 s1, 0, s18
	v_rcp_iflag_f32_e32 v2, v2
	v_mul_f32_e32 v2, 0x4f7ffffe, v2
	v_cvt_u32_f32_e32 v2, v2
	v_mul_lo_u32 v6, s1, v2
	v_mul_hi_u32 v6, v2, v6
	v_add_nc_u32_e32 v2, v2, v6
	v_mul_hi_u32 v2, v7, v2
	v_mul_lo_u32 v6, v2, s18
	v_add_nc_u32_e32 v9, 1, v2
	v_sub_nc_u32_e32 v6, v7, v6
	v_subrev_nc_u32_e32 v10, s18, v6
	v_cmp_le_u32_e32 vcc_lo, s18, v6
	v_cndmask_b32_e32 v6, v6, v10, vcc_lo
	v_cndmask_b32_e32 v2, v2, v9, vcc_lo
	v_mov_b32_e32 v10, v5
	v_cmp_le_u32_e32 vcc_lo, s18, v6
	v_add_nc_u32_e32 v9, 1, v2
	v_cndmask_b32_e32 v9, v2, v9, vcc_lo
.LBB0_6:                                ;   in Loop: Header=BB0_2 Depth=1
	s_or_b32 exec_lo, exec_lo, s0
	s_load_dwordx2 s[0:1], s[6:7], 0x0
	v_mul_lo_u32 v2, v10, s18
	v_mul_lo_u32 v6, v9, s19
	v_mad_u64_u32 v[11:12], null, v9, s18, 0
	s_add_u32 s16, s16, 1
	s_addc_u32 s17, s17, 0
	s_add_u32 s6, s6, 8
	s_addc_u32 s7, s7, 0
	;; [unrolled: 2-line block ×3, first 2 shown]
	v_add3_u32 v2, v12, v6, v2
	v_sub_co_u32 v6, vcc_lo, v7, v11
	v_sub_co_ci_u32_e32 v2, vcc_lo, v8, v2, vcc_lo
	s_waitcnt lgkmcnt(0)
	v_mul_lo_u32 v7, s1, v6
	v_mul_lo_u32 v2, s0, v2
	v_mad_u64_u32 v[3:4], null, s0, v6, v[3:4]
	v_cmp_ge_u64_e64 s0, s[16:17], s[10:11]
	s_and_b32 vcc_lo, exec_lo, s0
	v_add3_u32 v4, v7, v4, v2
	s_cbranch_vccnz .LBB0_8
; %bb.7:                                ;   in Loop: Header=BB0_2 Depth=1
	v_mov_b32_e32 v7, v9
	v_mov_b32_e32 v8, v10
	s_branch .LBB0_2
.LBB0_8:
	s_lshl_b64 s[0:1], s[10:11], 3
	v_mul_hi_u32 v6, 0x24924925, v0
	s_add_u32 s0, s12, s0
	s_addc_u32 s1, s13, s1
                                        ; implicit-def: $vgpr22
                                        ; implicit-def: $vgpr20
                                        ; implicit-def: $vgpr18
	s_load_dwordx2 s[0:1], s[0:1], 0x0
	s_load_dwordx2 s[4:5], s[4:5], 0x20
	v_mul_u32_u24_e32 v6, 7, v6
	v_sub_nc_u32_e32 v6, v0, v6
	s_waitcnt lgkmcnt(0)
	v_mul_lo_u32 v7, s0, v10
	v_mul_lo_u32 v8, s1, v9
	v_mad_u64_u32 v[2:3], null, s0, v9, v[3:4]
	v_mov_b32_e32 v4, 0
	v_mov_b32_e32 v5, 0
	v_cmp_gt_u64_e32 vcc_lo, s[4:5], v[9:10]
	v_mov_b32_e32 v14, v5
	v_add3_u32 v3, v8, v3, v7
	v_mov_b32_e32 v12, v5
	v_mov_b32_e32 v16, v5
	;; [unrolled: 1-line block ×4, first 2 shown]
	v_lshlrev_b64 v[2:3], 3, v[2:3]
	v_mov_b32_e32 v11, v4
	v_mov_b32_e32 v15, v4
	;; [unrolled: 1-line block ×3, first 2 shown]
	s_and_saveexec_b32 s1, vcc_lo
; %bb.9:
	v_mov_b32_e32 v7, 0
	v_add_co_u32 v0, s0, s2, v2
	v_add_co_ci_u32_e64 v8, s0, s3, v3, s0
	v_lshlrev_b64 v[4:5], 3, v[6:7]
	v_add_co_u32 v4, s0, v0, v4
	v_add_co_ci_u32_e64 v5, s0, v8, v5, s0
	s_clause 0x6
	global_load_dwordx2 v[8:9], v[4:5], off
	global_load_dwordx2 v[13:14], v[4:5], off offset:56
	global_load_dwordx2 v[11:12], v[4:5], off offset:112
	;; [unrolled: 1-line block ×6, first 2 shown]
	v_mov_b32_e32 v4, v6
	v_mov_b32_e32 v5, v7
; %bb.10:
	s_or_b32 exec_lo, exec_lo, s1
	v_mul_hi_u32 v0, 0x38e38e39, v1
	s_waitcnt vmcnt(0)
	v_add_f32_e32 v7, v21, v13
	v_add_f32_e32 v10, v22, v14
	v_sub_f32_e32 v13, v13, v21
	v_sub_f32_e32 v14, v14, v22
	v_add_f32_e32 v21, v19, v11
	v_add_f32_e32 v22, v20, v12
	v_sub_f32_e32 v11, v11, v19
	v_lshrrev_b32_e32 v0, 1, v0
	v_sub_f32_e32 v12, v12, v20
	v_add_f32_e32 v19, v17, v15
	v_add_f32_e32 v20, v18, v16
	v_sub_f32_e32 v15, v15, v17
	v_sub_f32_e32 v16, v16, v18
	v_add_f32_e32 v17, v7, v21
	v_add_f32_e32 v18, v10, v22
	v_lshl_add_u32 v0, v0, 3, v0
	v_sub_f32_e32 v23, v21, v7
	v_sub_f32_e32 v7, v7, v19
	;; [unrolled: 1-line block ×3, first 2 shown]
	v_add_f32_e32 v24, v11, v15
	v_add_f32_e32 v25, v12, v16
	v_sub_f32_e32 v27, v16, v12
	v_add_f32_e32 v17, v17, v19
	v_add_f32_e32 v18, v18, v20
	v_sub_nc_u32_e32 v0, v1, v0
	v_sub_f32_e32 v1, v22, v10
	v_sub_f32_e32 v10, v10, v20
	;; [unrolled: 1-line block ×8, first 2 shown]
	v_add_f32_e32 v19, v13, v24
	v_add_f32_e32 v13, v14, v25
	;; [unrolled: 1-line block ×4, first 2 shown]
	v_mul_f32_e32 v9, 0x3f4a47b2, v7
	v_mul_f32_e32 v21, 0x3d64c772, v21
	;; [unrolled: 1-line block ×7, first 2 shown]
	v_mul_u32_u24_e32 v0, 49, v0
	v_fmamk_f32 v17, v17, 0xbf955555, v8
	v_fmamk_f32 v7, v7, 0x3f4a47b2, v21
	v_fma_f32 v21, 0x3f3bfb3b, v23, -v21
	v_fma_f32 v9, 0xbf3bfb3b, v23, -v9
	v_fmamk_f32 v23, v16, 0xbeae86e6, v25
	v_mul_f32_e32 v26, 0xbf5ff5aa, v11
	v_fmamk_f32 v18, v18, 0xbf955555, v14
	v_fmamk_f32 v10, v10, 0x3f4a47b2, v22
	v_fma_f32 v22, 0x3f3bfb3b, v1, -v22
	v_fma_f32 v1, 0xbf3bfb3b, v1, -v20
	v_fmamk_f32 v20, v15, 0xbeae86e6, v24
	v_fma_f32 v24, 0xbf5ff5aa, v11, -v24
	v_fma_f32 v11, 0xbf5ff5aa, v12, -v25
	;; [unrolled: 1-line block ×3, first 2 shown]
	v_add_f32_e32 v7, v7, v17
	v_fmac_f32_e32 v23, 0xbee1c552, v13
	v_lshl_add_u32 v0, v0, 2, 0
	v_add_f32_e32 v16, v10, v18
	v_add_f32_e32 v10, v21, v17
	;; [unrolled: 1-line block ×3, first 2 shown]
	v_fmac_f32_e32 v12, 0xbee1c552, v13
	v_fmac_f32_e32 v11, 0xbee1c552, v13
	v_add_f32_e32 v21, v22, v18
	v_add_f32_e32 v17, v1, v18
	v_add_f32_e32 v1, v7, v23
	v_mad_u32_u24 v22, v6, 28, v0
	v_add_f32_e32 v13, v9, v12
	v_sub_f32_e32 v18, v10, v11
	v_add_f32_e32 v10, v10, v11
	v_sub_f32_e32 v9, v9, v12
	v_sub_f32_e32 v7, v7, v23
	v_lshl_add_u32 v12, v6, 2, v0
	ds_write2_b32 v22, v8, v1 offset1:1
	ds_write2_b32 v22, v13, v18 offset0:2 offset1:3
	ds_write2_b32 v22, v10, v9 offset0:4 offset1:5
	ds_write_b32 v22, v7 offset:24
	v_mad_i32_i24 v13, 0xffffffe8, v6, v22
	s_waitcnt lgkmcnt(0)
	s_barrier
	buffer_gl0_inv
	ds_read_b32 v11, v12
	ds_read2_b32 v[0:1], v13 offset0:7 offset1:14
	ds_read2_b32 v[7:8], v13 offset0:21 offset1:28
	;; [unrolled: 1-line block ×3, first 2 shown]
	v_fma_f32 v15, 0x3eae86e6, v15, -v26
	v_fmac_f32_e32 v20, 0xbee1c552, v19
	v_fmac_f32_e32 v24, 0xbee1c552, v19
	s_waitcnt lgkmcnt(0)
	s_barrier
	v_fmac_f32_e32 v15, 0xbee1c552, v19
	v_sub_f32_e32 v18, v16, v20
	v_add_f32_e32 v23, v24, v21
	v_sub_f32_e32 v21, v21, v24
	v_add_f32_e32 v16, v20, v16
	;; [unrolled: 2-line block ×3, first 2 shown]
	buffer_gl0_inv
	ds_write2_b32 v22, v14, v18 offset1:1
	ds_write2_b32 v22, v19, v23 offset0:2 offset1:3
	ds_write2_b32 v22, v21, v15 offset0:4 offset1:5
	ds_write_b32 v22, v16 offset:24
	s_waitcnt lgkmcnt(0)
	s_barrier
	buffer_gl0_inv
	s_and_saveexec_b32 s0, vcc_lo
	s_cbranch_execz .LBB0_12
; %bb.11:
	v_mul_u32_u24_e32 v6, 6, v6
	v_lshlrev_b64 v[4:5], 3, v[4:5]
	v_add_co_u32 v2, vcc_lo, s2, v2
	v_add_co_ci_u32_e32 v3, vcc_lo, s3, v3, vcc_lo
	v_lshlrev_b32_e32 v6, 3, v6
	v_add_co_u32 v2, vcc_lo, v2, v4
	v_add_co_ci_u32_e32 v3, vcc_lo, v3, v5, vcc_lo
	s_clause 0x2
	global_load_dwordx4 v[14:17], v6, s[8:9]
	global_load_dwordx4 v[18:21], v6, s[8:9] offset:32
	global_load_dwordx4 v[22:25], v6, s[8:9] offset:16
	ds_read2_b32 v[26:27], v13 offset0:7 offset1:14
	ds_read2_b32 v[28:29], v13 offset0:21 offset1:28
	ds_read2_b32 v[30:31], v13 offset0:35 offset1:42
	ds_read_b32 v6, v12
	s_waitcnt vmcnt(2)
	v_mul_f32_e32 v4, v0, v14
	s_waitcnt vmcnt(1)
	v_mul_f32_e32 v5, v10, v20
	;; [unrolled: 2-line block ×3, first 2 shown]
	v_mul_f32_e32 v13, v7, v22
	v_mul_f32_e32 v32, v1, v16
	;; [unrolled: 1-line block ×9, first 2 shown]
	s_waitcnt lgkmcnt(3)
	v_fmac_f32_e32 v4, v26, v15
	s_waitcnt lgkmcnt(1)
	v_fmac_f32_e32 v5, v31, v21
	v_fmac_f32_e32 v12, v29, v25
	;; [unrolled: 1-line block ×5, first 2 shown]
	v_fma_f32 v10, v31, v20, -v10
	v_fma_f32 v0, v26, v14, -v0
	;; [unrolled: 1-line block ×6, first 2 shown]
	v_sub_f32_e32 v14, v4, v5
	v_sub_f32_e32 v15, v12, v13
	v_add_f32_e32 v17, v0, v10
	v_add_f32_e32 v19, v1, v9
	;; [unrolled: 1-line block ×5, first 2 shown]
	v_sub_f32_e32 v16, v32, v33
	v_add_f32_e32 v18, v8, v7
	v_sub_f32_e32 v0, v0, v10
	v_sub_f32_e32 v7, v8, v7
	;; [unrolled: 1-line block ×3, first 2 shown]
	v_add_f32_e32 v20, v17, v19
	v_add_f32_e32 v23, v4, v12
	v_sub_f32_e32 v8, v14, v15
	v_sub_f32_e32 v9, v15, v16
	v_add_f32_e32 v10, v15, v16
	v_sub_f32_e32 v13, v17, v18
	v_sub_f32_e32 v15, v18, v19
	;; [unrolled: 1-line block ×6, first 2 shown]
	v_add_f32_e32 v7, v7, v1
	v_sub_f32_e32 v16, v16, v14
	v_add_f32_e32 v18, v18, v20
	v_add_f32_e32 v5, v5, v23
	v_sub_f32_e32 v4, v12, v4
	v_sub_f32_e32 v12, v1, v0
	;; [unrolled: 1-line block ×3, first 2 shown]
	v_mul_f32_e32 v9, 0x3f08b237, v9
	v_add_f32_e32 v10, v14, v10
	v_mul_f32_e32 v14, 0x3f4a47b2, v13
	v_mul_f32_e32 v15, 0x3d64c772, v15
	;; [unrolled: 1-line block ×4, first 2 shown]
	v_add_f32_e32 v7, v0, v7
	v_mul_f32_e32 v23, 0xbf5ff5aa, v16
	s_waitcnt lgkmcnt(0)
	v_add_f32_e32 v1, v6, v18
	v_add_f32_e32 v0, v11, v5
	v_mul_f32_e32 v19, 0x3f4a47b2, v21
	v_mul_f32_e32 v25, 0xbf5ff5aa, v12
	v_fmamk_f32 v26, v8, 0xbeae86e6, v9
	v_fmamk_f32 v13, v13, 0x3f4a47b2, v15
	;; [unrolled: 1-line block ×4, first 2 shown]
	v_fma_f32 v8, 0x3eae86e6, v8, -v23
	v_fma_f32 v11, 0xbf3bfb3b, v17, -v14
	;; [unrolled: 1-line block ×5, first 2 shown]
	v_fmamk_f32 v12, v18, 0xbf955555, v1
	v_fmamk_f32 v5, v5, 0xbf955555, v0
	v_fma_f32 v14, 0xbf3bfb3b, v4, -v19
	v_fma_f32 v19, 0x3eae86e6, v24, -v25
	v_fma_f32 v4, 0x3f3bfb3b, v4, -v20
	v_fmac_f32_e32 v26, 0xbee1c552, v10
	v_fmac_f32_e32 v21, 0xbee1c552, v7
	;; [unrolled: 1-line block ×4, first 2 shown]
	v_add_f32_e32 v10, v13, v12
	v_add_f32_e32 v6, v6, v5
	;; [unrolled: 1-line block ×4, first 2 shown]
	v_fmac_f32_e32 v19, 0xbee1c552, v7
	v_add_f32_e32 v14, v14, v5
	v_fmac_f32_e32 v16, 0xbee1c552, v7
	v_add_f32_e32 v4, v4, v5
	v_sub_f32_e32 v7, v12, v9
	v_add_f32_e32 v9, v9, v12
	v_sub_f32_e32 v13, v10, v26
	v_add_f32_e32 v12, v21, v6
	global_store_dwordx2 v[2:3], v[0:1], off
	v_add_f32_e32 v1, v26, v10
	v_add_f32_e32 v5, v8, v11
	v_sub_f32_e32 v11, v11, v8
	v_add_f32_e32 v10, v19, v14
	v_sub_f32_e32 v8, v4, v16
	v_sub_f32_e32 v0, v6, v21
	v_add_f32_e32 v6, v16, v4
	v_sub_f32_e32 v4, v14, v19
	global_store_dwordx2 v[2:3], v[12:13], off offset:56
	global_store_dwordx2 v[2:3], v[10:11], off offset:112
	;; [unrolled: 1-line block ×6, first 2 shown]
.LBB0_12:
	s_endpgm
	.section	.rodata,"a",@progbits
	.p2align	6, 0x0
	.amdhsa_kernel fft_rtc_back_len49_factors_7_7_wgs_63_tpt_7_halfLds_sp_ip_CI_unitstride_sbrr_dirReg
		.amdhsa_group_segment_fixed_size 0
		.amdhsa_private_segment_fixed_size 0
		.amdhsa_kernarg_size 88
		.amdhsa_user_sgpr_count 6
		.amdhsa_user_sgpr_private_segment_buffer 1
		.amdhsa_user_sgpr_dispatch_ptr 0
		.amdhsa_user_sgpr_queue_ptr 0
		.amdhsa_user_sgpr_kernarg_segment_ptr 1
		.amdhsa_user_sgpr_dispatch_id 0
		.amdhsa_user_sgpr_flat_scratch_init 0
		.amdhsa_user_sgpr_private_segment_size 0
		.amdhsa_wavefront_size32 1
		.amdhsa_uses_dynamic_stack 0
		.amdhsa_system_sgpr_private_segment_wavefront_offset 0
		.amdhsa_system_sgpr_workgroup_id_x 1
		.amdhsa_system_sgpr_workgroup_id_y 0
		.amdhsa_system_sgpr_workgroup_id_z 0
		.amdhsa_system_sgpr_workgroup_info 0
		.amdhsa_system_vgpr_workitem_id 0
		.amdhsa_next_free_vgpr 34
		.amdhsa_next_free_sgpr 21
		.amdhsa_reserve_vcc 1
		.amdhsa_reserve_flat_scratch 0
		.amdhsa_float_round_mode_32 0
		.amdhsa_float_round_mode_16_64 0
		.amdhsa_float_denorm_mode_32 3
		.amdhsa_float_denorm_mode_16_64 3
		.amdhsa_dx10_clamp 1
		.amdhsa_ieee_mode 1
		.amdhsa_fp16_overflow 0
		.amdhsa_workgroup_processor_mode 1
		.amdhsa_memory_ordered 1
		.amdhsa_forward_progress 0
		.amdhsa_shared_vgpr_count 0
		.amdhsa_exception_fp_ieee_invalid_op 0
		.amdhsa_exception_fp_denorm_src 0
		.amdhsa_exception_fp_ieee_div_zero 0
		.amdhsa_exception_fp_ieee_overflow 0
		.amdhsa_exception_fp_ieee_underflow 0
		.amdhsa_exception_fp_ieee_inexact 0
		.amdhsa_exception_int_div_zero 0
	.end_amdhsa_kernel
	.text
.Lfunc_end0:
	.size	fft_rtc_back_len49_factors_7_7_wgs_63_tpt_7_halfLds_sp_ip_CI_unitstride_sbrr_dirReg, .Lfunc_end0-fft_rtc_back_len49_factors_7_7_wgs_63_tpt_7_halfLds_sp_ip_CI_unitstride_sbrr_dirReg
                                        ; -- End function
	.section	.AMDGPU.csdata,"",@progbits
; Kernel info:
; codeLenInByte = 2764
; NumSgprs: 23
; NumVgprs: 34
; ScratchSize: 0
; MemoryBound: 0
; FloatMode: 240
; IeeeMode: 1
; LDSByteSize: 0 bytes/workgroup (compile time only)
; SGPRBlocks: 2
; VGPRBlocks: 4
; NumSGPRsForWavesPerEU: 23
; NumVGPRsForWavesPerEU: 34
; Occupancy: 16
; WaveLimiterHint : 1
; COMPUTE_PGM_RSRC2:SCRATCH_EN: 0
; COMPUTE_PGM_RSRC2:USER_SGPR: 6
; COMPUTE_PGM_RSRC2:TRAP_HANDLER: 0
; COMPUTE_PGM_RSRC2:TGID_X_EN: 1
; COMPUTE_PGM_RSRC2:TGID_Y_EN: 0
; COMPUTE_PGM_RSRC2:TGID_Z_EN: 0
; COMPUTE_PGM_RSRC2:TIDIG_COMP_CNT: 0
	.text
	.p2alignl 6, 3214868480
	.fill 48, 4, 3214868480
	.type	__hip_cuid_fa5908a516a96192,@object ; @__hip_cuid_fa5908a516a96192
	.section	.bss,"aw",@nobits
	.globl	__hip_cuid_fa5908a516a96192
__hip_cuid_fa5908a516a96192:
	.byte	0                               ; 0x0
	.size	__hip_cuid_fa5908a516a96192, 1

	.ident	"AMD clang version 19.0.0git (https://github.com/RadeonOpenCompute/llvm-project roc-6.4.0 25133 c7fe45cf4b819c5991fe208aaa96edf142730f1d)"
	.section	".note.GNU-stack","",@progbits
	.addrsig
	.addrsig_sym __hip_cuid_fa5908a516a96192
	.amdgpu_metadata
---
amdhsa.kernels:
  - .args:
      - .actual_access:  read_only
        .address_space:  global
        .offset:         0
        .size:           8
        .value_kind:     global_buffer
      - .offset:         8
        .size:           8
        .value_kind:     by_value
      - .actual_access:  read_only
        .address_space:  global
        .offset:         16
        .size:           8
        .value_kind:     global_buffer
      - .actual_access:  read_only
        .address_space:  global
        .offset:         24
        .size:           8
        .value_kind:     global_buffer
      - .offset:         32
        .size:           8
        .value_kind:     by_value
      - .actual_access:  read_only
        .address_space:  global
        .offset:         40
        .size:           8
        .value_kind:     global_buffer
      - .actual_access:  read_only
        .address_space:  global
        .offset:         48
        .size:           8
        .value_kind:     global_buffer
      - .offset:         56
        .size:           4
        .value_kind:     by_value
      - .actual_access:  read_only
        .address_space:  global
        .offset:         64
        .size:           8
        .value_kind:     global_buffer
      - .actual_access:  read_only
        .address_space:  global
        .offset:         72
        .size:           8
        .value_kind:     global_buffer
      - .address_space:  global
        .offset:         80
        .size:           8
        .value_kind:     global_buffer
    .group_segment_fixed_size: 0
    .kernarg_segment_align: 8
    .kernarg_segment_size: 88
    .language:       OpenCL C
    .language_version:
      - 2
      - 0
    .max_flat_workgroup_size: 63
    .name:           fft_rtc_back_len49_factors_7_7_wgs_63_tpt_7_halfLds_sp_ip_CI_unitstride_sbrr_dirReg
    .private_segment_fixed_size: 0
    .sgpr_count:     23
    .sgpr_spill_count: 0
    .symbol:         fft_rtc_back_len49_factors_7_7_wgs_63_tpt_7_halfLds_sp_ip_CI_unitstride_sbrr_dirReg.kd
    .uniform_work_group_size: 1
    .uses_dynamic_stack: false
    .vgpr_count:     34
    .vgpr_spill_count: 0
    .wavefront_size: 32
    .workgroup_processor_mode: 1
amdhsa.target:   amdgcn-amd-amdhsa--gfx1030
amdhsa.version:
  - 1
  - 2
...

	.end_amdgpu_metadata
